;; amdgpu-corpus repo=ROCm/rocFFT kind=compiled arch=gfx1030 opt=O3
	.text
	.amdgcn_target "amdgcn-amd-amdhsa--gfx1030"
	.amdhsa_code_object_version 6
	.protected	fft_rtc_fwd_len192_factors_2_2_3_4_4_wgs_256_tpt_16_dim2_sp_ip_CI_sbcc_twdbase8_2step_dirReg ; -- Begin function fft_rtc_fwd_len192_factors_2_2_3_4_4_wgs_256_tpt_16_dim2_sp_ip_CI_sbcc_twdbase8_2step_dirReg
	.globl	fft_rtc_fwd_len192_factors_2_2_3_4_4_wgs_256_tpt_16_dim2_sp_ip_CI_sbcc_twdbase8_2step_dirReg
	.p2align	8
	.type	fft_rtc_fwd_len192_factors_2_2_3_4_4_wgs_256_tpt_16_dim2_sp_ip_CI_sbcc_twdbase8_2step_dirReg,@function
fft_rtc_fwd_len192_factors_2_2_3_4_4_wgs_256_tpt_16_dim2_sp_ip_CI_sbcc_twdbase8_2step_dirReg: ; @fft_rtc_fwd_len192_factors_2_2_3_4_4_wgs_256_tpt_16_dim2_sp_ip_CI_sbcc_twdbase8_2step_dirReg
; %bb.0:
	s_load_dwordx4 s[0:3], s[4:5], 0x10
	s_mov_b32 s7, 0
	s_mov_b64 s[16:17], 0
	s_waitcnt lgkmcnt(0)
	s_load_dwordx2 s[12:13], s[0:1], 0x8
	s_load_dwordx2 s[10:11], s[4:5], 0x50
	;; [unrolled: 1-line block ×3, first 2 shown]
	s_waitcnt lgkmcnt(0)
	s_add_u32 s0, s12, -1
	s_addc_u32 s1, s13, -1
	s_lshr_b64 s[0:1], s[0:1], 4
	s_add_u32 s14, s0, 1
	s_addc_u32 s15, s1, 0
	v_cmp_lt_u64_e64 s0, s[6:7], s[14:15]
	s_and_b32 vcc_lo, exec_lo, s0
	s_cbranch_vccnz .LBB0_2
; %bb.1:
	v_cvt_f32_u32_e32 v1, s14
	s_sub_i32 s1, 0, s14
	v_rcp_iflag_f32_e32 v1, v1
	v_mul_f32_e32 v1, 0x4f7ffffe, v1
	v_cvt_u32_f32_e32 v1, v1
	v_readfirstlane_b32 s0, v1
	s_mul_i32 s1, s1, s0
	s_mul_hi_u32 s1, s0, s1
	s_add_i32 s0, s0, s1
	s_mul_hi_u32 s0, s6, s0
	s_mul_i32 s1, s0, s14
	s_add_i32 s7, s0, 1
	s_sub_i32 s1, s6, s1
	s_sub_i32 s16, s1, s14
	s_cmp_ge_u32 s1, s14
	s_cselect_b32 s0, s7, s0
	s_cselect_b32 s1, s16, s1
	s_add_i32 s7, s0, 1
	s_cmp_ge_u32 s1, s14
	s_cselect_b32 s16, s7, s0
.LBB0_2:
	s_load_dwordx4 s[0:3], s[2:3], 0x8
	s_mul_i32 s7, s16, s15
	s_mul_hi_u32 s15, s16, s14
	s_mul_i32 s14, s16, s14
	s_add_i32 s15, s15, s7
	s_sub_u32 s14, s6, s14
	s_subb_u32 s15, 0, s15
	s_load_dwordx2 s[6:7], s[4:5], 0x0
	v_alignbit_b32 v1, s15, s14, 28
	s_lshl_b64 s[14:15], s[14:15], 4
	v_and_b32_e32 v43, 15, v0
	v_mov_b32_e32 v30, s15
	v_lshrrev_b32_e32 v25, 4, v0
	v_readfirstlane_b32 s17, v1
	v_or_b32_e32 v29, s14, v43
	s_waitcnt lgkmcnt(0)
	s_mul_i32 s18, s14, s1
	s_mul_hi_u32 s19, s14, s0
	s_mul_i32 s17, s17, s0
	s_mul_i32 s3, s3, s16
	s_mul_hi_u32 s21, s2, s16
	s_mul_i32 s2, s2, s16
	s_add_i32 s16, s19, s18
	s_mul_i32 s20, s14, s0
	s_add_i32 s21, s21, s3
	s_add_i32 s16, s16, s17
	s_add_u32 s2, s2, s20
	s_addc_u32 s3, s21, s16
	s_add_u32 s16, s14, 16
	s_addc_u32 s17, s15, 0
	v_cmp_gt_u64_e64 s18, s[16:17], s[12:13]
	v_cmp_le_u64_e64 s14, s[16:17], s[12:13]
	s_and_b32 vcc_lo, exec_lo, s18
	s_cbranch_vccz .LBB0_8
; %bb.3:
	s_mov_b32 s15, exec_lo
                                        ; implicit-def: $vgpr44
                                        ; implicit-def: $vgpr42
                                        ; implicit-def: $vgpr26
                                        ; implicit-def: $vgpr27
                                        ; implicit-def: $vgpr28
	v_cmpx_le_u64_e64 s[12:13], v[29:30]
	s_xor_b32 s15, exec_lo, s15
; %bb.4:
	v_or_b32_e32 v44, 16, v25
	v_or_b32_e32 v42, 32, v25
	;; [unrolled: 1-line block ×5, first 2 shown]
; %bb.5:
	s_or_saveexec_b32 s15, s15
                                        ; implicit-def: $vgpr1
                                        ; implicit-def: $vgpr15
                                        ; implicit-def: $vgpr13
                                        ; implicit-def: $vgpr9
                                        ; implicit-def: $vgpr17
                                        ; implicit-def: $vgpr11
                                        ; implicit-def: $vgpr19
                                        ; implicit-def: $vgpr23
                                        ; implicit-def: $vgpr21
                                        ; implicit-def: $vgpr3
                                        ; implicit-def: $vgpr7
                                        ; implicit-def: $vgpr5
	s_xor_b32 exec_lo, exec_lo, s15
	s_cbranch_execz .LBB0_7
; %bb.6:
	v_mad_u64_u32 v[1:2], null, s0, v43, 0
	v_mad_u64_u32 v[3:4], null, s8, v25, 0
	v_or_b32_e32 v11, 0x60, v25
	v_or_b32_e32 v44, 16, v25
	;; [unrolled: 1-line block ×3, first 2 shown]
	s_lshl_b64 s[16:17], s[2:3], 3
	v_or_b32_e32 v42, 32, v25
	s_add_u32 s16, s10, s16
	v_mad_u64_u32 v[5:6], null, s1, v43, v[2:3]
	v_mad_u64_u32 v[9:10], null, s8, v44, 0
	s_addc_u32 s17, s11, s17
	v_or_b32_e32 v20, 0x80, v25
	v_or_b32_e32 v26, 48, v25
	;; [unrolled: 1-line block ×3, first 2 shown]
	v_mad_u64_u32 v[6:7], null, s9, v25, v[4:5]
	v_mad_u64_u32 v[7:8], null, s8, v11, 0
	v_mov_b32_e32 v2, v5
	v_mad_u64_u32 v[18:19], null, s8, v26, 0
	v_or_b32_e32 v31, 0xa0, v25
	v_mov_b32_e32 v4, v6
	v_mov_b32_e32 v6, v10
	;; [unrolled: 1-line block ×3, first 2 shown]
	v_lshlrev_b64 v[1:2], 3, v[1:2]
	v_or_b32_e32 v28, 0x50, v25
	v_lshlrev_b64 v[3:4], 3, v[3:4]
	v_mad_u64_u32 v[10:11], null, s9, v11, v[5:6]
	v_mad_u64_u32 v[5:6], null, s9, v44, v[6:7]
	;; [unrolled: 1-line block ×3, first 2 shown]
	v_add_co_u32 v40, vcc_lo, s16, v1
	v_add_co_ci_u32_e32 v41, vcc_lo, s17, v2, vcc_lo
	v_mov_b32_e32 v8, v10
	v_add_co_u32 v1, vcc_lo, v40, v3
	v_add_co_ci_u32_e32 v2, vcc_lo, v41, v4, vcc_lo
	v_mov_b32_e32 v10, v5
	v_lshlrev_b64 v[4:5], 3, v[7:8]
	v_mov_b32_e32 v3, v12
	v_mad_u64_u32 v[23:24], null, s8, v28, 0
	v_mad_u64_u32 v[6:7], null, s9, v13, v[3:4]
	v_lshlrev_b64 v[7:8], 3, v[9:10]
	v_mad_u64_u32 v[9:10], null, s8, v42, 0
	v_add_co_u32 v3, vcc_lo, v40, v4
	v_add_co_ci_u32_e32 v4, vcc_lo, v41, v5, vcc_lo
	v_mov_b32_e32 v12, v6
	v_add_co_u32 v13, vcc_lo, v40, v7
	v_mov_b32_e32 v5, v10
	v_add_co_ci_u32_e32 v14, vcc_lo, v41, v8, vcc_lo
	v_lshlrev_b64 v[6:7], 3, v[11:12]
	v_mad_u64_u32 v[11:12], null, s8, v20, 0
	v_mad_u64_u32 v[15:16], null, s9, v42, v[5:6]
	v_add_co_u32 v16, vcc_lo, v40, v6
	v_mov_b32_e32 v5, v12
	v_add_co_ci_u32_e32 v17, vcc_lo, v41, v7, vcc_lo
	v_mov_b32_e32 v10, v15
	v_mad_u64_u32 v[20:21], null, s9, v20, v[5:6]
	s_clause 0x3
	global_load_dwordx2 v[5:6], v[1:2], off
	global_load_dwordx2 v[7:8], v[3:4], off
	;; [unrolled: 1-line block ×4, first 2 shown]
	v_mov_b32_e32 v13, v19
	v_or_b32_e32 v21, 0x90, v25
	v_mad_u64_u32 v[16:17], null, s8, v27, 0
	v_lshlrev_b64 v[9:10], 3, v[9:10]
	v_mad_u64_u32 v[13:14], null, s9, v26, v[13:14]
	v_mad_u64_u32 v[14:15], null, s8, v21, 0
	v_mov_b32_e32 v12, v20
	v_add_co_u32 v9, vcc_lo, v40, v9
	v_add_co_ci_u32_e32 v10, vcc_lo, v41, v10, vcc_lo
	v_mov_b32_e32 v19, v13
	v_mov_b32_e32 v13, v15
	v_lshlrev_b64 v[11:12], 3, v[11:12]
	v_mad_u64_u32 v[20:21], null, s9, v21, v[13:14]
	v_mad_u64_u32 v[21:22], null, s8, v31, 0
	v_mov_b32_e32 v13, v17
	v_lshlrev_b64 v[17:18], 3, v[18:19]
	v_add_co_u32 v11, vcc_lo, v40, v11
	v_mov_b32_e32 v15, v20
	v_mad_u64_u32 v[19:20], null, s9, v27, v[13:14]
	v_mov_b32_e32 v13, v22
	v_or_b32_e32 v20, 0xb0, v25
	v_add_co_ci_u32_e32 v12, vcc_lo, v41, v12, vcc_lo
	v_add_co_u32 v34, vcc_lo, v40, v17
	v_mad_u64_u32 v[31:32], null, s9, v31, v[13:14]
	v_mad_u64_u32 v[32:33], null, s8, v20, 0
	v_lshlrev_b64 v[14:15], 3, v[14:15]
	v_mov_b32_e32 v13, v24
	v_add_co_ci_u32_e32 v35, vcc_lo, v41, v18, vcc_lo
	v_mov_b32_e32 v17, v19
	v_mov_b32_e32 v22, v31
	v_mad_u64_u32 v[18:19], null, s9, v28, v[13:14]
	v_mov_b32_e32 v13, v33
	v_add_co_u32 v14, vcc_lo, v40, v14
	v_lshlrev_b64 v[16:17], 3, v[16:17]
	v_add_co_ci_u32_e32 v15, vcc_lo, v41, v15, vcc_lo
	v_mad_u64_u32 v[19:20], null, s9, v20, v[13:14]
	v_mov_b32_e32 v24, v18
	v_lshlrev_b64 v[20:21], 3, v[21:22]
	v_add_co_u32 v36, vcc_lo, v40, v16
	v_add_co_ci_u32_e32 v37, vcc_lo, v41, v17, vcc_lo
	v_mov_b32_e32 v33, v19
	v_lshlrev_b64 v[16:17], 3, v[23:24]
	v_add_co_u32 v38, vcc_lo, v40, v20
	v_add_co_ci_u32_e32 v39, vcc_lo, v41, v21, vcc_lo
	v_lshlrev_b64 v[18:19], 3, v[32:33]
	v_add_co_u32 v31, vcc_lo, v40, v16
	v_add_co_ci_u32_e32 v32, vcc_lo, v41, v17, vcc_lo
	v_add_co_u32 v40, vcc_lo, v40, v18
	v_add_co_ci_u32_e32 v41, vcc_lo, v41, v19, vcc_lo
	s_clause 0x7
	global_load_dwordx2 v[21:22], v[9:10], off
	global_load_dwordx2 v[23:24], v[11:12], off
	;; [unrolled: 1-line block ×8, first 2 shown]
.LBB0_7:
	s_or_b32 exec_lo, exec_lo, s15
	s_cbranch_execz .LBB0_9
	s_branch .LBB0_10
.LBB0_8:
                                        ; implicit-def: $vgpr1
                                        ; implicit-def: $vgpr15
                                        ; implicit-def: $vgpr13
                                        ; implicit-def: $vgpr9
                                        ; implicit-def: $vgpr17
                                        ; implicit-def: $vgpr11
                                        ; implicit-def: $vgpr19
                                        ; implicit-def: $vgpr23
                                        ; implicit-def: $vgpr21
                                        ; implicit-def: $vgpr3
                                        ; implicit-def: $vgpr7
                                        ; implicit-def: $vgpr5
                                        ; implicit-def: $vgpr44
                                        ; implicit-def: $vgpr42
                                        ; implicit-def: $vgpr26
                                        ; implicit-def: $vgpr27
                                        ; implicit-def: $vgpr28
.LBB0_9:
	s_waitcnt vmcnt(8)
	v_mad_u64_u32 v[1:2], null, s0, v43, 0
	v_mad_u64_u32 v[3:4], null, s8, v25, 0
	s_waitcnt vmcnt(3)
	v_or_b32_e32 v11, 0x60, v25
	v_or_b32_e32 v44, 16, v25
	s_waitcnt vmcnt(0)
	v_or_b32_e32 v13, 0x70, v25
	s_lshl_b64 s[16:17], s[2:3], 3
	v_or_b32_e32 v42, 32, v25
	s_add_u32 s15, s10, s16
	v_mad_u64_u32 v[5:6], null, s1, v43, v[2:3]
	v_mad_u64_u32 v[9:10], null, s8, v44, 0
	s_addc_u32 s16, s11, s17
	v_or_b32_e32 v20, 0x80, v25
	v_or_b32_e32 v26, 48, v25
	;; [unrolled: 1-line block ×3, first 2 shown]
	v_mad_u64_u32 v[6:7], null, s9, v25, v[4:5]
	v_mad_u64_u32 v[7:8], null, s8, v11, 0
	v_mov_b32_e32 v2, v5
	v_mad_u64_u32 v[18:19], null, s8, v26, 0
	v_or_b32_e32 v31, 0xa0, v25
	v_mov_b32_e32 v4, v6
	v_mov_b32_e32 v6, v10
	;; [unrolled: 1-line block ×3, first 2 shown]
	v_lshlrev_b64 v[1:2], 3, v[1:2]
	v_or_b32_e32 v28, 0x50, v25
	v_lshlrev_b64 v[3:4], 3, v[3:4]
	v_mad_u64_u32 v[10:11], null, s9, v11, v[5:6]
	v_mad_u64_u32 v[5:6], null, s9, v44, v[6:7]
	;; [unrolled: 1-line block ×3, first 2 shown]
	v_add_co_u32 v40, vcc_lo, s15, v1
	v_add_co_ci_u32_e32 v41, vcc_lo, s16, v2, vcc_lo
	v_mov_b32_e32 v8, v10
	v_add_co_u32 v1, vcc_lo, v40, v3
	v_add_co_ci_u32_e32 v2, vcc_lo, v41, v4, vcc_lo
	v_mov_b32_e32 v10, v5
	v_lshlrev_b64 v[4:5], 3, v[7:8]
	v_mov_b32_e32 v3, v12
	v_mad_u64_u32 v[23:24], null, s8, v28, 0
	v_mad_u64_u32 v[6:7], null, s9, v13, v[3:4]
	v_lshlrev_b64 v[7:8], 3, v[9:10]
	v_mad_u64_u32 v[9:10], null, s8, v42, 0
	v_add_co_u32 v3, vcc_lo, v40, v4
	v_add_co_ci_u32_e32 v4, vcc_lo, v41, v5, vcc_lo
	v_mov_b32_e32 v12, v6
	v_add_co_u32 v13, vcc_lo, v40, v7
	v_mov_b32_e32 v5, v10
	v_add_co_ci_u32_e32 v14, vcc_lo, v41, v8, vcc_lo
	v_lshlrev_b64 v[6:7], 3, v[11:12]
	v_mad_u64_u32 v[11:12], null, s8, v20, 0
	v_mad_u64_u32 v[15:16], null, s9, v42, v[5:6]
	v_add_co_u32 v16, vcc_lo, v40, v6
	v_mov_b32_e32 v5, v12
	v_add_co_ci_u32_e32 v17, vcc_lo, v41, v7, vcc_lo
	v_mov_b32_e32 v10, v15
	v_mad_u64_u32 v[20:21], null, s9, v20, v[5:6]
	s_clause 0x3
	global_load_dwordx2 v[5:6], v[1:2], off
	global_load_dwordx2 v[7:8], v[3:4], off
	;; [unrolled: 1-line block ×4, first 2 shown]
	v_mov_b32_e32 v13, v19
	v_or_b32_e32 v21, 0x90, v25
	v_mad_u64_u32 v[16:17], null, s8, v27, 0
	v_lshlrev_b64 v[9:10], 3, v[9:10]
	v_mad_u64_u32 v[13:14], null, s9, v26, v[13:14]
	v_mad_u64_u32 v[14:15], null, s8, v21, 0
	v_mov_b32_e32 v12, v20
	v_add_co_u32 v9, vcc_lo, v40, v9
	v_add_co_ci_u32_e32 v10, vcc_lo, v41, v10, vcc_lo
	v_mov_b32_e32 v19, v13
	v_mov_b32_e32 v13, v15
	v_lshlrev_b64 v[11:12], 3, v[11:12]
	v_mad_u64_u32 v[20:21], null, s9, v21, v[13:14]
	v_mad_u64_u32 v[21:22], null, s8, v31, 0
	v_mov_b32_e32 v13, v17
	v_lshlrev_b64 v[17:18], 3, v[18:19]
	v_add_co_u32 v11, vcc_lo, v40, v11
	v_mov_b32_e32 v15, v20
	v_mad_u64_u32 v[19:20], null, s9, v27, v[13:14]
	v_mov_b32_e32 v13, v22
	v_or_b32_e32 v20, 0xb0, v25
	v_add_co_ci_u32_e32 v12, vcc_lo, v41, v12, vcc_lo
	v_add_co_u32 v34, vcc_lo, v40, v17
	v_mad_u64_u32 v[31:32], null, s9, v31, v[13:14]
	v_mad_u64_u32 v[32:33], null, s8, v20, 0
	v_lshlrev_b64 v[14:15], 3, v[14:15]
	v_mov_b32_e32 v13, v24
	v_add_co_ci_u32_e32 v35, vcc_lo, v41, v18, vcc_lo
	v_mov_b32_e32 v17, v19
	v_mov_b32_e32 v22, v31
	v_mad_u64_u32 v[18:19], null, s9, v28, v[13:14]
	v_mov_b32_e32 v13, v33
	v_add_co_u32 v14, vcc_lo, v40, v14
	v_lshlrev_b64 v[16:17], 3, v[16:17]
	v_add_co_ci_u32_e32 v15, vcc_lo, v41, v15, vcc_lo
	v_mad_u64_u32 v[19:20], null, s9, v20, v[13:14]
	v_mov_b32_e32 v24, v18
	v_lshlrev_b64 v[20:21], 3, v[21:22]
	v_add_co_u32 v36, vcc_lo, v40, v16
	v_add_co_ci_u32_e32 v37, vcc_lo, v41, v17, vcc_lo
	v_mov_b32_e32 v33, v19
	v_lshlrev_b64 v[16:17], 3, v[23:24]
	v_add_co_u32 v38, vcc_lo, v40, v20
	v_add_co_ci_u32_e32 v39, vcc_lo, v41, v21, vcc_lo
	v_lshlrev_b64 v[18:19], 3, v[32:33]
	v_add_co_u32 v31, vcc_lo, v40, v16
	v_add_co_ci_u32_e32 v32, vcc_lo, v41, v17, vcc_lo
	v_add_co_u32 v40, vcc_lo, v40, v18
	v_add_co_ci_u32_e32 v41, vcc_lo, v41, v19, vcc_lo
	s_clause 0x7
	global_load_dwordx2 v[21:22], v[9:10], off
	global_load_dwordx2 v[23:24], v[11:12], off
	;; [unrolled: 1-line block ×8, first 2 shown]
.LBB0_10:
	s_waitcnt vmcnt(8)
	v_sub_f32_e32 v31, v3, v1
	v_sub_f32_e32 v32, v4, v2
	;; [unrolled: 1-line block ×4, first 2 shown]
	v_lshlrev_b32_e32 v1, 3, v43
	v_fma_f32 v2, v3, 2.0, -v31
	v_fma_f32 v3, v4, 2.0, -v32
	v_lshlrev_b32_e32 v4, 8, v25
	v_fma_f32 v5, v5, 2.0, -v7
	v_fma_f32 v6, v6, 2.0, -v8
	v_lshlrev_b32_e32 v33, 8, v44
	s_waitcnt vmcnt(6)
	v_sub_f32_e32 v23, v21, v23
	v_add3_u32 v4, 0, v4, v1
	v_sub_f32_e32 v24, v22, v24
	s_waitcnt vmcnt(0)
	v_sub_f32_e32 v13, v9, v13
	v_add3_u32 v33, 0, v33, v1
	v_sub_f32_e32 v14, v10, v14
	ds_write2_b64 v4, v[5:6], v[7:8] offset1:16
	v_lshlrev_b32_e32 v5, 8, v42
	v_lshlrev_b32_e32 v6, 8, v26
	;; [unrolled: 1-line block ×3, first 2 shown]
	ds_write2_b64 v33, v[2:3], v[31:32] offset1:16
	v_lshlrev_b32_e32 v2, 8, v28
	v_add3_u32 v3, 0, v5, v1
	v_add3_u32 v5, 0, v6, v1
	;; [unrolled: 1-line block ×3, first 2 shown]
	v_bfe_u32 v7, v0, 4, 1
	v_sub_f32_e32 v15, v19, v15
	v_sub_f32_e32 v16, v20, v16
	;; [unrolled: 1-line block ×4, first 2 shown]
	v_fma_f32 v21, v21, 2.0, -v23
	v_fma_f32 v22, v22, 2.0, -v24
	;; [unrolled: 1-line block ×4, first 2 shown]
	v_add3_u32 v2, 0, v2, v1
	v_lshlrev_b32_e32 v8, 3, v7
	v_fma_f32 v19, v19, 2.0, -v15
	v_fma_f32 v20, v20, 2.0, -v16
	;; [unrolled: 1-line block ×4, first 2 shown]
	ds_write2_b64 v3, v[21:22], v[23:24] offset1:16
	ds_write2_b64 v5, v[19:20], v[15:16] offset1:16
	;; [unrolled: 1-line block ×4, first 2 shown]
	s_waitcnt lgkmcnt(0)
	s_barrier
	buffer_gl0_inv
	global_load_dwordx2 v[14:15], v8, s[6:7]
	v_lshlrev_b32_e32 v8, 7, v25
	v_lshlrev_b32_e32 v10, 7, v42
	;; [unrolled: 1-line block ×10, first 2 shown]
	v_sub_nc_u32_e32 v45, v4, v8
	v_lshlrev_b32_e32 v9, 7, v44
	v_lshlrev_b32_e32 v12, 7, v27
	v_and_or_b32 v16, v16, 28, v7
	v_and_or_b32 v17, 0xfc, v17, v7
	;; [unrolled: 1-line block ×6, first 2 shown]
	v_sub_nc_u32_e32 v47, v3, v10
	v_sub_nc_u32_e32 v40, v5, v11
	;; [unrolled: 1-line block ×3, first 2 shown]
	ds_read2st64_b64 v[2:5], v45 offset1:24
	v_sub_nc_u32_e32 v46, v33, v9
	v_sub_nc_u32_e32 v33, v6, v12
	ds_read2st64_b64 v[6:9], v45 offset0:28 offset1:32
	v_lshlrev_b32_e32 v35, 7, v16
	v_lshlrev_b32_e32 v36, 7, v17
	;; [unrolled: 1-line block ×6, first 2 shown]
	ds_read_b64 v[16:17], v40
	ds_read2st64_b64 v[10:13], v45 offset0:36 offset1:40
	ds_read_b64 v[18:19], v33
	ds_read_b64 v[20:21], v22
	ds_read_b64 v[22:23], v47
	ds_read_b64 v[27:28], v46
	ds_read_b64 v[31:32], v45 offset:22528
	v_bfe_u32 v24, v0, 4, 2
	v_add3_u32 v35, 0, v35, v1
	v_add3_u32 v36, 0, v36, v1
	;; [unrolled: 1-line block ×4, first 2 shown]
	v_lshlrev_b32_e32 v34, 4, v24
	v_add3_u32 v39, 0, v39, v1
	s_waitcnt vmcnt(0) lgkmcnt(0)
	s_barrier
	buffer_gl0_inv
	v_add3_u32 v41, 0, v41, v1
	v_cmp_gt_u64_e32 vcc_lo, s[12:13], v[29:30]
	s_or_b32 s12, s14, vcc_lo
	v_mul_f32_e32 v48, v15, v5
	v_mul_f32_e32 v49, v15, v4
	;; [unrolled: 1-line block ×12, first 2 shown]
	v_fma_f32 v4, v14, v4, -v48
	v_fmac_f32_e32 v49, v14, v5
	v_fma_f32 v6, v14, v6, -v50
	v_fmac_f32_e32 v51, v14, v7
	;; [unrolled: 2-line block ×6, first 2 shown]
	v_sub_f32_e32 v4, v2, v4
	v_sub_f32_e32 v5, v3, v49
	;; [unrolled: 1-line block ×12, first 2 shown]
	v_fma_f32 v2, v2, 2.0, -v4
	v_fma_f32 v3, v3, 2.0, -v5
	;; [unrolled: 1-line block ×12, first 2 shown]
	ds_write2_b64 v35, v[2:3], v[4:5] offset1:32
	ds_write2_b64 v36, v[27:28], v[6:7] offset1:32
	;; [unrolled: 1-line block ×6, first 2 shown]
	s_waitcnt lgkmcnt(0)
	s_barrier
	buffer_gl0_inv
	global_load_dwordx4 v[2:5], v34, s[6:7] offset:16
	v_lshrrev_b32_e32 v7, 2, v44
	v_mul_lo_u16 v10, v25, 22
	v_lshrrev_b32_e32 v6, 6, v0
	v_lshrrev_b32_e32 v8, 2, v42
	v_lshrrev_b32_e32 v9, 2, v26
	v_and_b32_e32 v11, 0xff, v44
	v_and_b32_e32 v12, 0xff, v42
	v_mul_lo_u32 v7, v7, 12
	v_lshrrev_b16 v28, 8, v10
	v_mul_u32_u24_e32 v6, 12, v6
	v_mul_lo_u32 v8, v8, 12
	v_mul_lo_u32 v9, v9, 12
	v_mul_lo_u16 v10, 0xab, v11
	v_mul_lo_u16 v11, 0xab, v12
	;; [unrolled: 1-line block ×3, first 2 shown]
	v_or_b32_e32 v6, v6, v24
	v_or_b32_e32 v7, v7, v24
	v_lshrrev_b16 v35, 11, v10
	v_lshrrev_b16 v36, 11, v11
	v_mov_b32_e32 v48, 3
	v_or_b32_e32 v8, v8, v24
	v_or_b32_e32 v9, v9, v24
	v_sub_nc_u16 v24, v25, v12
	v_lshlrev_b32_e32 v6, 7, v6
	v_mul_lo_u16 v10, v35, 12
	v_mul_lo_u16 v14, v36, 12
	v_lshlrev_b32_e32 v15, 7, v7
	v_lshlrev_b32_e32 v18, 7, v8
	;; [unrolled: 1-line block ×3, first 2 shown]
	v_mul_u32_u24_sdwa v20, v24, v48 dst_sel:DWORD dst_unused:UNUSED_PAD src0_sel:BYTE_0 src1_sel:DWORD
	ds_read_b64 v[22:23], v33
	v_add3_u32 v38, 0, v6, v1
	ds_read2st64_b64 v[6:9], v45 offset0:32 offset1:36
	v_sub_nc_u16 v37, v44, v10
	ds_read2st64_b64 v[10:13], v45 offset1:20
	v_sub_nc_u16 v41, v42, v14
	v_add3_u32 v39, 0, v15, v1
	ds_read2st64_b64 v[14:17], v45 offset0:24 offset1:28
	v_add3_u32 v49, 0, v18, v1
	v_add3_u32 v50, 0, v19, v1
	v_lshlrev_b32_e32 v51, 3, v20
	ds_read2st64_b64 v[18:21], v45 offset0:40 offset1:44
	v_mul_u32_u24_sdwa v26, v37, v48 dst_sel:DWORD dst_unused:UNUSED_PAD src0_sel:BYTE_0 src1_sel:DWORD
	v_lshlrev_b32_e32 v52, 3, v26
	ds_read_b64 v[26:27], v46
	ds_read_b64 v[31:32], v47
	;; [unrolled: 1-line block ×3, first 2 shown]
	s_waitcnt vmcnt(0) lgkmcnt(0)
	s_barrier
	buffer_gl0_inv
	v_mul_f32_e32 v53, v3, v23
	v_mul_f32_e32 v54, v3, v22
	;; [unrolled: 1-line block ×16, first 2 shown]
	v_fma_f32 v5, v4, v6, -v55
	v_fmac_f32_e32 v56, v4, v7
	v_fmac_f32_e32 v59, v4, v9
	v_fma_f32 v9, v2, v22, -v53
	v_fmac_f32_e32 v54, v2, v23
	v_fma_f32 v6, v4, v8, -v58
	v_fma_f32 v12, v2, v12, -v57
	v_fmac_f32_e32 v3, v2, v13
	v_fma_f32 v7, v2, v14, -v60
	v_fmac_f32_e32 v61, v2, v15
	;; [unrolled: 2-line block ×5, first 2 shown]
	v_add_f32_e32 v2, v9, v5
	v_add_f32_e32 v17, v54, v56
	;; [unrolled: 1-line block ×7, first 2 shown]
	v_sub_f32_e32 v15, v54, v56
	v_add_f32_e32 v16, v11, v54
	v_sub_f32_e32 v18, v9, v5
	v_add_f32_e32 v9, v26, v12
	;; [unrolled: 2-line block ×5, first 2 shown]
	v_add_f32_e32 v61, v8, v14
	v_sub_f32_e32 v62, v63, v67
	v_add_f32_e32 v64, v34, v63
	v_add_f32_e32 v63, v63, v67
	v_fma_f32 v2, -0.5, v2, v10
	v_fma_f32 v3, -0.5, v17, v11
	v_add_f32_e32 v60, v33, v8
	v_fma_f32 v26, -0.5, v19, v26
	v_fmac_f32_e32 v27, -0.5, v22
	v_sub_f32_e32 v58, v7, v13
	v_fma_f32 v31, -0.5, v53, v31
	v_fmac_f32_e32 v32, -0.5, v57
	v_sub_f32_e32 v66, v8, v14
	v_add_f32_e32 v4, v4, v5
	v_add_f32_e32 v5, v16, v56
	;; [unrolled: 1-line block ×3, first 2 shown]
	v_fma_f32 v33, -0.5, v61, v33
	v_fmac_f32_e32 v34, -0.5, v63
	v_fmamk_f32 v12, v15, 0x3f5db3d7, v2
	v_fmamk_f32 v13, v18, 0xbf5db3d7, v3
	v_fmac_f32_e32 v2, 0xbf5db3d7, v15
	v_fmac_f32_e32 v3, 0x3f5db3d7, v18
	v_add_f32_e32 v6, v9, v6
	v_add_f32_e32 v7, v21, v59
	;; [unrolled: 1-line block ×3, first 2 shown]
	v_fmamk_f32 v14, v20, 0x3f5db3d7, v26
	v_fmamk_f32 v15, v23, 0xbf5db3d7, v27
	v_fmac_f32_e32 v26, 0xbf5db3d7, v20
	v_fmac_f32_e32 v27, 0x3f5db3d7, v23
	v_add_f32_e32 v9, v55, v65
	v_fmamk_f32 v16, v54, 0x3f5db3d7, v31
	v_fmamk_f32 v17, v58, 0xbf5db3d7, v32
	v_add_f32_e32 v11, v64, v67
	v_fmac_f32_e32 v31, 0xbf5db3d7, v54
	v_fmac_f32_e32 v32, 0x3f5db3d7, v58
	v_fmamk_f32 v18, v62, 0x3f5db3d7, v33
	v_fmac_f32_e32 v33, 0xbf5db3d7, v62
	v_fmamk_f32 v19, v66, 0xbf5db3d7, v34
	v_fmac_f32_e32 v34, 0x3f5db3d7, v66
	ds_write2st64_b64 v38, v[4:5], v[12:13] offset1:1
	ds_write_b64 v38, v[2:3] offset:1024
	ds_write2st64_b64 v39, v[6:7], v[14:15] offset1:1
	ds_write_b64 v39, v[26:27] offset:1024
	;; [unrolled: 2-line block ×4, first 2 shown]
	v_mul_u32_u24_sdwa v6, v41, v48 dst_sel:DWORD dst_unused:UNUSED_PAD src0_sel:BYTE_0 src1_sel:DWORD
	s_waitcnt lgkmcnt(0)
	s_barrier
	buffer_gl0_inv
	global_load_dwordx2 v[22:23], v51, s[6:7] offset:96
	v_lshlrev_b32_e32 v14, 3, v6
	s_clause 0x4
	global_load_dwordx2 v[26:27], v52, s[6:7] offset:96
	global_load_dwordx4 v[2:5], v51, s[6:7] offset:80
	global_load_dwordx4 v[6:9], v52, s[6:7] offset:80
	;; [unrolled: 1-line block ×3, first 2 shown]
	global_load_dwordx2 v[38:39], v14, s[6:7] offset:96
	v_mov_b32_e32 v14, 48
	ds_read_b64 v[49:50], v40
	ds_read2st64_b64 v[30:33], v45 offset1:16
	v_mul_u32_u24_sdwa v15, v28, v14 dst_sel:DWORD dst_unused:UNUSED_PAD src0_sel:WORD_0 src1_sel:DWORD
	v_mul_u32_u24_sdwa v16, v35, v14 dst_sel:DWORD dst_unused:UNUSED_PAD src0_sel:WORD_0 src1_sel:DWORD
	;; [unrolled: 1-line block ×3, first 2 shown]
	v_or_b32_sdwa v19, v15, v24 dst_sel:DWORD dst_unused:UNUSED_PAD src0_sel:DWORD src1_sel:BYTE_0
	v_or_b32_sdwa v20, v16, v37 dst_sel:DWORD dst_unused:UNUSED_PAD src0_sel:DWORD src1_sel:BYTE_0
	ds_read2st64_b64 v[14:17], v45 offset0:36 offset1:40
	v_or_b32_sdwa v24, v18, v41 dst_sel:DWORD dst_unused:UNUSED_PAD src0_sel:DWORD src1_sel:BYTE_0
	ds_read2st64_b64 v[34:37], v45 offset0:28 offset1:32
	v_lshlrev_b32_e32 v28, 7, v19
	v_lshlrev_b32_e32 v41, 7, v20
	ds_read2st64_b64 v[18:21], v45 offset0:20 offset1:24
	ds_read_b64 v[51:52], v47
	ds_read_b64 v[53:54], v46
	ds_read_b64 v[55:56], v45 offset:22528
	v_lshlrev_b32_e32 v24, 7, v24
	v_add3_u32 v28, 0, v28, v1
	v_add3_u32 v41, 0, v41, v1
	s_waitcnt vmcnt(0) lgkmcnt(0)
	s_barrier
	v_add3_u32 v57, 0, v24, v1
	buffer_gl0_inv
	v_mul_f32_e32 v1, v23, v15
	v_mul_f32_e32 v23, v23, v14
	;; [unrolled: 1-line block ×18, first 2 shown]
	v_fma_f32 v1, v22, v14, -v1
	v_fmac_f32_e32 v23, v22, v15
	v_fma_f32 v15, v2, v49, -v58
	v_fmac_f32_e32 v3, v2, v50
	;; [unrolled: 2-line block ×9, first 2 shown]
	v_sub_f32_e32 v16, v30, v2
	v_sub_f32_e32 v17, v31, v5
	;; [unrolled: 1-line block ×12, first 2 shown]
	v_fma_f32 v22, v30, 2.0, -v16
	v_fma_f32 v23, v31, 2.0, -v17
	;; [unrolled: 1-line block ×8, first 2 shown]
	v_sub_f32_e32 v1, v16, v1
	v_fma_f32 v27, v51, 2.0, -v20
	v_fma_f32 v30, v52, 2.0, -v21
	v_fma_f32 v31, v8, 2.0, -v9
	v_fma_f32 v32, v11, 2.0, -v10
	v_add_f32_e32 v2, v17, v2
	v_add_f32_e32 v4, v19, v5
	v_sub_f32_e32 v5, v20, v10
	v_sub_f32_e32 v7, v22, v12
	;; [unrolled: 1-line block ×4, first 2 shown]
	v_add_f32_e32 v6, v21, v9
	v_sub_f32_e32 v11, v24, v14
	v_sub_f32_e32 v12, v26, v15
	v_fma_f32 v9, v16, 2.0, -v1
	v_sub_f32_e32 v15, v27, v31
	v_sub_f32_e32 v16, v30, v32
	v_fma_f32 v10, v17, 2.0, -v2
	v_fma_f32 v14, v19, 2.0, -v4
	;; [unrolled: 1-line block ×11, first 2 shown]
	ds_write2st64_b64 v28, v[7:8], v[1:2] offset0:6 offset1:9
	ds_write2st64_b64 v28, v[19:20], v[9:10] offset1:3
	ds_write2st64_b64 v41, v[21:22], v[13:14] offset1:3
	ds_write2st64_b64 v41, v[11:12], v[3:4] offset0:6 offset1:9
	ds_write2st64_b64 v57, v[23:24], v[17:18] offset1:3
	ds_write2st64_b64 v57, v[15:16], v[5:6] offset0:6 offset1:9
	s_waitcnt lgkmcnt(0)
	s_barrier
	buffer_gl0_inv
	s_and_saveexec_b32 s13, s12
	s_cbranch_execz .LBB0_12
; %bb.11:
	v_or_b32_e32 v1, -16, v25
	v_cmp_gt_u32_e32 vcc_lo, 0x100, v0
	v_or_b32_e32 v3, 0xffffffe0, v25
	v_mov_b32_e32 v2, 0
	v_or_b32_e32 v5, 0xffffffd0, v25
	s_load_dwordx2 s[4:5], s[4:5], 0x8
	v_cndmask_b32_e32 v49, v1, v42, vcc_lo
	v_cmp_gt_u32_e32 vcc_lo, 0x200, v0
	s_lshl_b64 s[2:3], s[2:3], 3
	v_mul_i32_i24_e32 v1, 3, v49
	v_cndmask_b32_e32 v51, v3, v44, vcc_lo
	v_cmp_gt_u32_e32 vcc_lo, 0x300, v0
	v_add_nc_u32_e32 v55, 48, v49
	v_add_nc_u32_e32 v54, 0x60, v49
	v_lshlrev_b64 v[3:4], 3, v[1:2]
	v_mul_i32_i24_e32 v1, 3, v51
	v_cndmask_b32_e32 v50, v5, v25, vcc_lo
	v_mul_lo_u32 v55, v29, v55
	v_mul_lo_u32 v54, v29, v54
	v_add_nc_u32_e32 v56, 0x90, v51
	v_lshlrev_b64 v[5:6], 3, v[1:2]
	v_add_co_u32 v3, vcc_lo, s6, v3
	v_add_co_ci_u32_e32 v4, vcc_lo, s7, v4, vcc_lo
	v_mul_i32_i24_e32 v1, 3, v50
	v_add_co_u32 v5, vcc_lo, s6, v5
	v_add_co_ci_u32_e32 v6, vcc_lo, s7, v6, vcc_lo
	v_lshlrev_b64 v[1:2], 3, v[1:2]
	s_clause 0x1
	global_load_dwordx2 v[38:39], v[3:4], off offset:384
	global_load_dwordx2 v[36:37], v[5:6], off offset:384
	v_bfe_u32 v65, v55, 8, 8
	v_bfe_u32 v64, v54, 8, 8
	v_add_nc_u32_e32 v57, 0x60, v51
	v_add_co_u32 v13, vcc_lo, s6, v1
	v_add_co_ci_u32_e32 v14, vcc_lo, s7, v2, vcc_lo
	s_clause 0x3
	global_load_dwordx4 v[9:12], v[13:14], off offset:368
	global_load_dwordx4 v[5:8], v[5:6], off offset:368
	;; [unrolled: 1-line block ×3, first 2 shown]
	global_load_dwordx2 v[34:35], v[13:14], off offset:384
	v_add_nc_u32_e32 v13, 0x90, v49
	v_mul_lo_u32 v49, v29, v49
	v_mul_lo_u32 v56, v29, v56
	v_lshlrev_b32_sdwa v54, v48, v54 dst_sel:DWORD dst_unused:UNUSED_PAD src0_sel:DWORD src1_sel:BYTE_0
	v_lshl_or_b32 v64, v64, 3, 0x800
	v_mul_lo_u32 v13, v29, v13
	v_mul_lo_u32 v57, v29, v57
	v_add_nc_u32_e32 v58, 48, v51
	v_lshlrev_b32_sdwa v55, v48, v55 dst_sel:DWORD dst_unused:UNUSED_PAD src0_sel:DWORD src1_sel:BYTE_0
	v_lshlrev_b32_sdwa v62, v48, v49 dst_sel:DWORD dst_unused:UNUSED_PAD src0_sel:DWORD src1_sel:BYTE_0
	v_bfe_u32 v49, v49, 8, 8
	v_lshlrev_b32_sdwa v66, v48, v56 dst_sel:DWORD dst_unused:UNUSED_PAD src0_sel:DWORD src1_sel:BYTE_0
	v_bfe_u32 v56, v56, 8, 8
	v_bfe_u32 v14, v13, 8, 8
	v_lshlrev_b32_sdwa v13, v48, v13 dst_sel:DWORD dst_unused:UNUSED_PAD src0_sel:DWORD src1_sel:BYTE_0
	v_lshl_or_b32 v49, v49, 3, 0x800
	v_mul_lo_u32 v51, v29, v51
	v_add_nc_u32_e32 v59, 0x90, v50
	v_lshl_or_b32 v14, v14, 3, 0x800
	s_waitcnt lgkmcnt(0)
	s_clause 0x1
	global_load_dwordx2 v[30:31], v13, s[4:5]
	global_load_dwordx2 v[32:33], v14, s[4:5]
	ds_read2st64_b64 v[25:28], v45 offset0:40 offset1:44
	ds_read2st64_b64 v[21:24], v45 offset0:24 offset1:28
	;; [unrolled: 1-line block ×4, first 2 shown]
	ds_read_b64 v[40:41], v40
	ds_read_b64 v[52:53], v47
	v_add_nc_u32_e32 v60, 0x60, v50
	v_mul_lo_u32 v58, v29, v58
	v_bfe_u32 v67, v57, 8, 8
	v_mul_lo_u32 v59, v29, v59
	v_lshlrev_b32_sdwa v57, v48, v57 dst_sel:DWORD dst_unused:UNUSED_PAD src0_sel:DWORD src1_sel:BYTE_0
	v_mul_lo_u32 v60, v29, v60
	v_bfe_u32 v63, v51, 8, 8
	v_lshlrev_b32_sdwa v51, v48, v51 dst_sel:DWORD dst_unused:UNUSED_PAD src0_sel:DWORD src1_sel:BYTE_0
	v_add_nc_u32_e32 v61, 48, v50
	v_bfe_u32 v68, v58, 8, 8
	v_lshlrev_b32_sdwa v58, v48, v58 dst_sel:DWORD dst_unused:UNUSED_PAD src0_sel:DWORD src1_sel:BYTE_0
	v_lshl_or_b32 v63, v63, 3, 0x800
	v_bfe_u32 v69, v59, 8, 8
	v_bfe_u32 v71, v60, 8, 8
	v_lshl_or_b32 v68, v68, 3, 0x800
	v_lshlrev_b32_sdwa v59, v48, v59 dst_sel:DWORD dst_unused:UNUSED_PAD src0_sel:DWORD src1_sel:BYTE_0
	v_mul_lo_u32 v61, v29, v61
	v_mul_lo_u32 v29, v29, v50
	v_cmp_lt_u32_e32 vcc_lo, 0x1ff, v0
	s_waitcnt vmcnt(7) lgkmcnt(5)
	v_mul_f32_e32 v70, v28, v39
	v_mul_f32_e32 v72, v27, v39
	v_lshl_or_b32 v39, v65, 3, 0x800
	s_waitcnt vmcnt(6)
	v_mul_f32_e32 v73, v25, v37
	v_fma_f32 v65, v27, v38, -v70
	v_mul_f32_e32 v70, v26, v37
	v_fmac_f32_e32 v72, v28, v38
	s_clause 0x1
	global_load_dwordx2 v[27:28], v54, s[4:5]
	global_load_dwordx2 v[37:38], v64, s[4:5]
	v_fmac_f32_e32 v73, v26, v36
	s_waitcnt vmcnt(7) lgkmcnt(4)
	v_mul_f32_e32 v74, v12, v21
	v_fma_f32 v64, v25, v36, -v70
	s_waitcnt lgkmcnt(1)
	v_mul_f32_e32 v36, v10, v41
	v_mul_f32_e32 v70, v10, v40
	;; [unrolled: 1-line block ×3, first 2 shown]
	s_clause 0x1
	global_load_dwordx2 v[25:26], v55, s[4:5]
	global_load_dwordx2 v[54:55], v39, s[4:5]
	v_fmac_f32_e32 v74, v11, v22
	v_fma_f32 v36, v9, v40, -v36
	v_fmac_f32_e32 v70, v9, v41
	s_clause 0x1
	global_load_dwordx2 v[9:10], v62, s[4:5]
	global_load_dwordx2 v[39:40], v49, s[4:5]
	s_waitcnt vmcnt(10)
	v_mul_f32_e32 v49, v8, v23
	v_mul_f32_e32 v8, v8, v24
	v_fma_f32 v41, v11, v21, -v12
	v_lshl_or_b32 v11, v56, 3, 0x800
	v_lshl_or_b32 v56, v67, 3, 0x800
	v_fmac_f32_e32 v49, v7, v24
	v_fma_f32 v67, v7, v23, -v8
	s_clause 0x1
	global_load_dwordx2 v[7:8], v66, s[4:5]
	global_load_dwordx2 v[11:12], v11, s[4:5]
	v_mul_f32_e32 v62, v6, v18
	v_mul_f32_e32 v66, v6, v17
	s_clause 0x1
	global_load_dwordx2 v[21:22], v57, s[4:5]
	global_load_dwordx2 v[23:24], v56, s[4:5]
	s_waitcnt vmcnt(13)
	v_mul_f32_e32 v56, v20, v2
	v_mul_f32_e32 v75, v19, v2
	v_fma_f32 v62, v5, v17, -v62
	v_fmac_f32_e32 v66, v5, v18
	v_lshlrev_b32_sdwa v57, v48, v60 dst_sel:DWORD dst_unused:UNUSED_PAD src0_sel:DWORD src1_sel:BYTE_0
	s_clause 0x1
	global_load_dwordx2 v[5:6], v58, s[4:5]
	global_load_dwordx2 v[17:18], v68, s[4:5]
	v_fma_f32 v60, v19, v1, -v56
	v_fmac_f32_e32 v75, v20, v1
	v_mul_f32_e32 v68, v13, v4
	v_mul_f32_e32 v4, v14, v4
	s_clause 0x1
	global_load_dwordx2 v[1:2], v51, s[4:5]
	global_load_dwordx2 v[19:20], v63, s[4:5]
	s_waitcnt vmcnt(16)
	v_mul_f32_e32 v58, v35, v16
	v_mul_f32_e32 v63, v35, v15
	v_lshl_or_b32 v56, v69, 3, 0x800
	v_lshl_or_b32 v35, v71, 3, 0x800
	v_fmac_f32_e32 v68, v14, v3
	v_fma_f32 v51, v13, v3, -v4
	s_clause 0x1
	global_load_dwordx2 v[3:4], v59, s[4:5]
	global_load_dwordx2 v[13:14], v56, s[4:5]
	v_fma_f32 v69, v34, v15, -v58
	v_fmac_f32_e32 v63, v34, v16
	s_clause 0x1
	global_load_dwordx2 v[15:16], v57, s[4:5]
	global_load_dwordx2 v[34:35], v35, s[4:5]
	v_bfe_u32 v56, v61, 8, 8
	v_lshlrev_b32_sdwa v57, v48, v61 dst_sel:DWORD dst_unused:UNUSED_PAD src0_sel:DWORD src1_sel:BYTE_0
	v_bfe_u32 v61, v29, 8, 8
	v_lshlrev_b32_sdwa v29, v48, v29 dst_sel:DWORD dst_unused:UNUSED_PAD src0_sel:DWORD src1_sel:BYTE_0
	s_waitcnt vmcnt(18)
	v_mul_f32_e32 v48, v31, v33
	v_lshl_or_b32 v58, v56, 3, 0x800
	s_clause 0x1
	global_load_dwordx2 v[56:57], v57, s[4:5]
	global_load_dwordx2 v[58:59], v58, s[4:5]
	v_mul_f32_e32 v33, v30, v33
	v_lshl_or_b32 v61, v61, 3, 0x800
	v_fma_f32 v48, v30, v32, -v48
	v_sub_f32_e32 v63, v70, v63
	v_fmac_f32_e32 v33, v31, v32
	s_clause 0x1
	global_load_dwordx2 v[29:30], v29, s[4:5]
	global_load_dwordx2 v[31:32], v61, s[4:5]
	ds_read_b32 v47, v47
	s_waitcnt vmcnt(20)
	v_mul_f32_e32 v61, v28, v38
	v_mul_f32_e32 v38, v27, v38
	v_fma_f32 v61, v27, v37, -v61
	v_fmac_f32_e32 v38, v28, v37
	s_waitcnt vmcnt(18)
	v_mul_f32_e32 v37, v26, v55
	v_mul_f32_e32 v55, v25, v55
	v_mad_u64_u32 v[27:28], null, s0, v43, 0
	s_add_u32 s0, s10, s2
	v_fma_f32 v25, v25, v54, -v37
	v_fmac_f32_e32 v55, v26, v54
	v_cndmask_b32_e64 v26, 0, 0x90, vcc_lo
	s_waitcnt vmcnt(16)
	v_mul_f32_e32 v37, v10, v40
	v_mul_f32_e32 v40, v9, v40
	v_cmp_lt_u32_e32 vcc_lo, 0x2ff, v0
	s_waitcnt vmcnt(14)
	v_mul_f32_e32 v71, v7, v12
	v_fma_f32 v37, v9, v39, -v37
	v_fmac_f32_e32 v40, v10, v39
	ds_read_b64 v[9:10], v46
	v_cndmask_b32_e64 v54, 0, 0xc0, vcc_lo
	v_mul_f32_e32 v39, v8, v12
	v_fmac_f32_e32 v71, v8, v11
	s_waitcnt vmcnt(12)
	v_mul_f32_e32 v8, v22, v24
	v_add_nc_u32_e32 v44, v26, v44
	ds_read_b32 v26, v45
	v_fma_f32 v39, v7, v11, -v39
	v_mul_f32_e32 v76, v21, v24
	v_mov_b32_e32 v7, v28
	v_or_b32_e32 v24, v50, v54
	s_waitcnt vmcnt(10)
	v_mul_f32_e32 v28, v6, v18
	v_fma_f32 v50, v21, v23, -v8
	v_mul_f32_e32 v54, v5, v18
	s_waitcnt vmcnt(8)
	v_mul_f32_e32 v8, v2, v20
	v_mad_u64_u32 v[11:12], null, s8, v44, 0
	v_fma_f32 v77, v5, v17, -v28
	v_fmac_f32_e32 v54, v6, v17
	v_mad_u64_u32 v[5:6], null, s1, v43, v[7:8]
	s_waitcnt vmcnt(4)
	v_mul_f32_e32 v7, v16, v35
	v_add_nc_u32_e32 v17, 48, v24
	v_mul_f32_e32 v6, v4, v14
	v_fma_f32 v79, v1, v19, -v8
	v_add_nc_u32_e32 v18, 48, v44
	v_fma_f32 v81, v15, v34, -v7
	v_mad_u64_u32 v[7:8], null, s8, v17, 0
	v_mul_f32_e32 v43, v3, v14
	v_fma_f32 v80, v3, v13, -v6
	v_mov_b32_e32 v6, v12
	v_mul_f32_e32 v78, v1, v20
	v_mov_b32_e32 v28, v5
	v_fmac_f32_e32 v43, v4, v13
	v_mad_u64_u32 v[3:4], null, s8, v18, 0
	v_mad_u64_u32 v[5:6], null, s9, v44, v[6:7]
	v_fmac_f32_e32 v78, v2, v19
	v_mad_u64_u32 v[1:2], null, s8, v24, 0
	v_fmac_f32_e32 v76, v22, v23
	v_mul_f32_e32 v35, v15, v35
	v_add_nc_u32_e32 v19, 0x60, v24
	v_mad_u64_u32 v[13:14], null, s9, v18, v[4:5]
	s_waitcnt vmcnt(2)
	v_mul_f32_e32 v12, v57, v59
	v_mad_u64_u32 v[14:15], null, s9, v24, v[2:3]
	v_add_nc_u32_e32 v23, 0x90, v24
	v_mov_b32_e32 v2, v8
	v_fmac_f32_e32 v35, v16, v34
	v_mul_f32_e32 v59, v56, v59
	v_fma_f32 v56, v56, v58, -v12
	v_mad_u64_u32 v[15:16], null, s8, v19, 0
	v_mov_b32_e32 v12, v5
	v_mad_u64_u32 v[5:6], null, s9, v17, v[2:3]
	v_mad_u64_u32 v[17:18], null, s8, v23, 0
	s_waitcnt vmcnt(0)
	v_mul_f32_e32 v4, v30, v32
	v_mov_b32_e32 v6, v16
	v_add_nc_u32_e32 v82, 0x60, v44
	v_fmac_f32_e32 v59, v57, v58
	v_mov_b32_e32 v8, v5
	v_fma_f32 v58, v29, v31, -v4
	v_mov_b32_e32 v5, v18
	v_mad_u64_u32 v[18:19], null, s9, v19, v[6:7]
	ds_read_b32 v24, v46
	ds_read_b64 v[19:20], v45
	v_mov_b32_e32 v2, v14
	v_mad_u64_u32 v[5:6], null, s9, v23, v[5:6]
	v_mov_b32_e32 v4, v13
	v_mad_u64_u32 v[13:14], null, s8, v82, 0
	v_lshlrev_b64 v[21:22], 3, v[27:28]
	v_mov_b32_e32 v16, v18
	s_addc_u32 s1, s11, s3
	v_mov_b32_e32 v18, v5
	v_mul_f32_e32 v57, v29, v32
	s_waitcnt lgkmcnt(5)
	v_sub_f32_e32 v5, v53, v68
	v_add_co_u32 v45, vcc_lo, s0, v21
	v_mov_b32_e32 v6, v14
	v_add_co_ci_u32_e32 v46, vcc_lo, s1, v22, vcc_lo
	v_lshlrev_b64 v[14:15], 3, v[15:16]
	v_lshlrev_b64 v[16:17], 3, v[17:18]
	v_sub_f32_e32 v18, v52, v51
	v_sub_f32_e32 v21, v60, v65
	;; [unrolled: 1-line block ×3, first 2 shown]
	v_fmac_f32_e32 v57, v30, v31
	v_fma_f32 v23, v53, 2.0, -v5
	s_waitcnt lgkmcnt(4)
	v_fma_f32 v30, v47, 2.0, -v18
	v_add_f32_e32 v27, v5, v21
	v_sub_f32_e32 v28, v18, v22
	v_fma_f32 v29, v75, 2.0, -v22
	v_fma_f32 v21, v60, 2.0, -v21
	s_waitcnt lgkmcnt(3)
	v_sub_f32_e32 v31, v10, v49
	v_sub_f32_e32 v9, v9, v67
	;; [unrolled: 1-line block ×4, first 2 shown]
	v_mul_f32_e32 v47, v27, v33
	v_mul_f32_e32 v22, v28, v33
	v_fma_f32 v5, v5, 2.0, -v27
	v_fma_f32 v18, v18, 2.0, -v28
	;; [unrolled: 1-line block ×3, first 2 shown]
	v_sub_f32_e32 v29, v23, v29
	v_sub_f32_e32 v49, v30, v21
	v_fma_f32 v51, v62, 2.0, -v32
	v_add_f32_e32 v32, v31, v32
	v_fma_f32 v52, v66, 2.0, -v34
	v_sub_f32_e32 v34, v9, v34
	s_waitcnt lgkmcnt(0)
	v_sub_f32_e32 v60, v20, v74
	v_sub_f32_e32 v41, v19, v41
	v_sub_f32_e32 v62, v36, v69
	v_fma_f32 v53, v24, 2.0, -v9
	v_fma_f32 v21, v28, v48, -v47
	v_fmac_f32_e32 v22, v27, v48
	v_mul_f32_e32 v27, v5, v55
	v_mul_f32_e32 v10, v18, v55
	;; [unrolled: 1-line block ×4, first 2 shown]
	v_fma_f32 v38, v23, 2.0, -v29
	v_mul_f32_e32 v23, v32, v71
	v_mul_f32_e32 v24, v34, v71
	v_fma_f32 v48, v9, 2.0, -v34
	v_sub_f32_e32 v52, v33, v52
	v_fma_f32 v20, v20, 2.0, -v60
	v_fma_f32 v36, v36, 2.0, -v62
	v_add_f32_e32 v55, v60, v62
	v_fma_f32 v62, v70, 2.0, -v63
	v_sub_f32_e32 v63, v41, v63
	v_fma_f32 v64, v26, 2.0, -v41
	v_fma_f32 v47, v30, 2.0, -v49
	;; [unrolled: 1-line block ×3, first 2 shown]
	v_fma_f32 v9, v18, v25, -v27
	v_fma_f32 v18, v49, v61, -v28
	;; [unrolled: 1-line block ×3, first 2 shown]
	v_fmac_f32_e32 v24, v32, v39
	v_fma_f32 v49, v33, 2.0, -v52
	v_mul_f32_e32 v30, v48, v54
	v_mul_f32_e32 v32, v63, v43
	;; [unrolled: 1-line block ×3, first 2 shown]
	v_sub_f32_e32 v39, v20, v62
	v_sub_f32_e32 v43, v64, v36
	v_lshlrev_b64 v[1:2], 3, v[1:2]
	v_lshlrev_b64 v[7:8], 3, v[7:8]
	v_fmac_f32_e32 v10, v5, v25
	v_fmac_f32_e32 v19, v29, v61
	v_mul_f32_e32 v5, v38, v40
	v_mul_f32_e32 v26, v47, v40
	;; [unrolled: 1-line block ×3, first 2 shown]
	v_fmac_f32_e32 v30, v31, v77
	v_fma_f32 v31, v63, v80, -v33
	v_fma_f32 v33, v64, 2.0, -v43
	v_fma_f32 v20, v20, 2.0, -v39
	;; [unrolled: 1-line block ×4, first 2 shown]
	v_add_co_u32 v1, vcc_lo, v45, v1
	v_add_co_ci_u32_e32 v2, vcc_lo, v46, v2, vcc_lo
	v_fma_f32 v25, v47, v37, -v5
	v_fmac_f32_e32 v26, v38, v37
	v_mul_f32_e32 v34, v43, v35
	v_mul_f32_e32 v40, v33, v57
	;; [unrolled: 1-line block ×3, first 2 shown]
	v_add_co_u32 v7, vcc_lo, v45, v7
	v_mul_f32_e32 v5, v39, v35
	v_mul_f32_e32 v36, v41, v59
	;; [unrolled: 1-line block ×3, first 2 shown]
	v_add_co_ci_u32_e32 v8, vcc_lo, v46, v8, vcc_lo
	v_lshlrev_b64 v[11:12], 3, v[11:12]
	v_add_co_u32 v14, vcc_lo, v45, v14
	v_fmac_f32_e32 v34, v39, v81
	v_fmac_f32_e32 v40, v20, v58
	v_fma_f32 v39, v33, v58, -v37
	v_add_co_ci_u32_e32 v15, vcc_lo, v46, v15, vcc_lo
	v_fmac_f32_e32 v36, v54, v56
	v_fma_f32 v35, v41, v56, -v35
	v_add_co_u32 v16, vcc_lo, v45, v16
	v_fma_f32 v33, v43, v81, -v5
	v_add_co_ci_u32_e32 v17, vcc_lo, v46, v17, vcc_lo
	v_sub_f32_e32 v51, v53, v51
	global_store_dwordx2 v[1:2], v[39:40], off
	global_store_dwordx2 v[7:8], v[35:36], off
	;; [unrolled: 1-line block ×3, first 2 shown]
	v_add_co_u32 v1, vcc_lo, v45, v11
	v_add_co_ci_u32_e32 v2, vcc_lo, v46, v12, vcc_lo
	v_cmp_lt_u32_e32 vcc_lo, 0xff, v0
	v_fma_f32 v53, v53, 2.0, -v51
	v_mad_u64_u32 v[5:6], null, s9, v82, v[6:7]
	v_lshlrev_b64 v[3:4], 3, v[3:4]
	v_cndmask_b32_e64 v0, 0, 0x90, vcc_lo
	v_mul_f32_e32 v38, v53, v78
	v_mul_f32_e32 v47, v49, v78
	v_add_nc_u32_e32 v11, 0x90, v44
	v_fmac_f32_e32 v32, v55, v80
	v_add_co_u32 v3, vcc_lo, v45, v3
	v_mov_b32_e32 v14, v5
	v_add_nc_u32_e32 v15, v0, v42
	v_fmac_f32_e32 v38, v49, v79
	v_fma_f32 v37, v53, v79, -v47
	v_fma_f32 v29, v48, v77, -v29
	v_add_co_ci_u32_e32 v4, vcc_lo, v46, v4, vcc_lo
	v_mad_u64_u32 v[5:6], null, s8, v11, 0
	global_store_dwordx2 v[16:17], v[31:32], off
	global_store_dwordx2 v[1:2], v[37:38], off
	;; [unrolled: 1-line block ×3, first 2 shown]
	v_lshlrev_b64 v[0:1], 3, v[13:14]
	v_add_nc_u32_e32 v14, 48, v15
	v_mad_u64_u32 v[2:3], null, s8, v15, 0
	v_add_nc_u32_e32 v17, 0x60, v15
	v_mov_b32_e32 v4, v6
	v_mad_u64_u32 v[7:8], null, s8, v14, 0
	v_mul_f32_e32 v28, v51, v76
	v_mul_f32_e32 v27, v52, v76
	v_mad_u64_u32 v[11:12], null, s9, v11, v[4:5]
	v_mad_u64_u32 v[12:13], null, s8, v17, 0
	v_add_co_u32 v0, vcc_lo, v45, v0
	v_mad_u64_u32 v[3:4], null, s9, v15, v[3:4]
	v_mov_b32_e32 v4, v8
	v_fmac_f32_e32 v28, v52, v50
	v_fma_f32 v27, v51, v50, -v27
	v_add_co_ci_u32_e32 v1, vcc_lo, v46, v1, vcc_lo
	v_add_nc_u32_e32 v20, 0x90, v15
	v_mad_u64_u32 v[14:15], null, s9, v14, v[4:5]
	global_store_dwordx2 v[0:1], v[27:28], off
	v_mov_b32_e32 v0, v13
	v_mad_u64_u32 v[15:16], null, s8, v20, 0
	v_mov_b32_e32 v6, v11
	v_lshlrev_b64 v[2:3], 3, v[2:3]
	v_mad_u64_u32 v[0:1], null, s9, v17, v[0:1]
	v_mov_b32_e32 v8, v14
	v_lshlrev_b64 v[4:5], 3, v[5:6]
	v_mov_b32_e32 v1, v16
	v_lshlrev_b64 v[6:7], 3, v[7:8]
	v_mov_b32_e32 v13, v0
	v_add_co_u32 v4, vcc_lo, v45, v4
	v_mad_u64_u32 v[16:17], null, s9, v20, v[1:2]
	v_add_co_ci_u32_e32 v5, vcc_lo, v46, v5, vcc_lo
	v_add_co_u32 v0, vcc_lo, v45, v2
	v_add_co_ci_u32_e32 v1, vcc_lo, v46, v3, vcc_lo
	v_lshlrev_b64 v[2:3], 3, v[12:13]
	v_add_co_u32 v6, vcc_lo, v45, v6
	v_lshlrev_b64 v[11:12], 3, v[15:16]
	v_add_co_ci_u32_e32 v7, vcc_lo, v46, v7, vcc_lo
	v_add_co_u32 v2, vcc_lo, v45, v2
	v_add_co_ci_u32_e32 v3, vcc_lo, v46, v3, vcc_lo
	v_add_co_u32 v11, vcc_lo, v45, v11
	v_add_co_ci_u32_e32 v12, vcc_lo, v46, v12, vcc_lo
	global_store_dwordx2 v[4:5], v[23:24], off
	global_store_dwordx2 v[0:1], v[25:26], off
	global_store_dwordx2 v[6:7], v[9:10], off
	global_store_dwordx2 v[2:3], v[18:19], off
	global_store_dwordx2 v[11:12], v[21:22], off
.LBB0_12:
	s_endpgm
	.section	.rodata,"a",@progbits
	.p2align	6, 0x0
	.amdhsa_kernel fft_rtc_fwd_len192_factors_2_2_3_4_4_wgs_256_tpt_16_dim2_sp_ip_CI_sbcc_twdbase8_2step_dirReg
		.amdhsa_group_segment_fixed_size 0
		.amdhsa_private_segment_fixed_size 0
		.amdhsa_kernarg_size 88
		.amdhsa_user_sgpr_count 6
		.amdhsa_user_sgpr_private_segment_buffer 1
		.amdhsa_user_sgpr_dispatch_ptr 0
		.amdhsa_user_sgpr_queue_ptr 0
		.amdhsa_user_sgpr_kernarg_segment_ptr 1
		.amdhsa_user_sgpr_dispatch_id 0
		.amdhsa_user_sgpr_flat_scratch_init 0
		.amdhsa_user_sgpr_private_segment_size 0
		.amdhsa_wavefront_size32 1
		.amdhsa_uses_dynamic_stack 0
		.amdhsa_system_sgpr_private_segment_wavefront_offset 0
		.amdhsa_system_sgpr_workgroup_id_x 1
		.amdhsa_system_sgpr_workgroup_id_y 0
		.amdhsa_system_sgpr_workgroup_id_z 0
		.amdhsa_system_sgpr_workgroup_info 0
		.amdhsa_system_vgpr_workitem_id 0
		.amdhsa_next_free_vgpr 83
		.amdhsa_next_free_sgpr 22
		.amdhsa_reserve_vcc 1
		.amdhsa_reserve_flat_scratch 0
		.amdhsa_float_round_mode_32 0
		.amdhsa_float_round_mode_16_64 0
		.amdhsa_float_denorm_mode_32 3
		.amdhsa_float_denorm_mode_16_64 3
		.amdhsa_dx10_clamp 1
		.amdhsa_ieee_mode 1
		.amdhsa_fp16_overflow 0
		.amdhsa_workgroup_processor_mode 1
		.amdhsa_memory_ordered 1
		.amdhsa_forward_progress 0
		.amdhsa_shared_vgpr_count 0
		.amdhsa_exception_fp_ieee_invalid_op 0
		.amdhsa_exception_fp_denorm_src 0
		.amdhsa_exception_fp_ieee_div_zero 0
		.amdhsa_exception_fp_ieee_overflow 0
		.amdhsa_exception_fp_ieee_underflow 0
		.amdhsa_exception_fp_ieee_inexact 0
		.amdhsa_exception_int_div_zero 0
	.end_amdhsa_kernel
	.text
.Lfunc_end0:
	.size	fft_rtc_fwd_len192_factors_2_2_3_4_4_wgs_256_tpt_16_dim2_sp_ip_CI_sbcc_twdbase8_2step_dirReg, .Lfunc_end0-fft_rtc_fwd_len192_factors_2_2_3_4_4_wgs_256_tpt_16_dim2_sp_ip_CI_sbcc_twdbase8_2step_dirReg
                                        ; -- End function
	.section	.AMDGPU.csdata,"",@progbits
; Kernel info:
; codeLenInByte = 7384
; NumSgprs: 24
; NumVgprs: 83
; ScratchSize: 0
; MemoryBound: 0
; FloatMode: 240
; IeeeMode: 1
; LDSByteSize: 0 bytes/workgroup (compile time only)
; SGPRBlocks: 2
; VGPRBlocks: 10
; NumSGPRsForWavesPerEU: 24
; NumVGPRsForWavesPerEU: 83
; Occupancy: 10
; WaveLimiterHint : 1
; COMPUTE_PGM_RSRC2:SCRATCH_EN: 0
; COMPUTE_PGM_RSRC2:USER_SGPR: 6
; COMPUTE_PGM_RSRC2:TRAP_HANDLER: 0
; COMPUTE_PGM_RSRC2:TGID_X_EN: 1
; COMPUTE_PGM_RSRC2:TGID_Y_EN: 0
; COMPUTE_PGM_RSRC2:TGID_Z_EN: 0
; COMPUTE_PGM_RSRC2:TIDIG_COMP_CNT: 0
	.text
	.p2alignl 6, 3214868480
	.fill 48, 4, 3214868480
	.type	__hip_cuid_b2696c885cdc8ee0,@object ; @__hip_cuid_b2696c885cdc8ee0
	.section	.bss,"aw",@nobits
	.globl	__hip_cuid_b2696c885cdc8ee0
__hip_cuid_b2696c885cdc8ee0:
	.byte	0                               ; 0x0
	.size	__hip_cuid_b2696c885cdc8ee0, 1

	.ident	"AMD clang version 19.0.0git (https://github.com/RadeonOpenCompute/llvm-project roc-6.4.0 25133 c7fe45cf4b819c5991fe208aaa96edf142730f1d)"
	.section	".note.GNU-stack","",@progbits
	.addrsig
	.addrsig_sym __hip_cuid_b2696c885cdc8ee0
	.amdgpu_metadata
---
amdhsa.kernels:
  - .args:
      - .actual_access:  read_only
        .address_space:  global
        .offset:         0
        .size:           8
        .value_kind:     global_buffer
      - .address_space:  global
        .offset:         8
        .size:           8
        .value_kind:     global_buffer
      - .actual_access:  read_only
        .address_space:  global
        .offset:         16
        .size:           8
        .value_kind:     global_buffer
      - .actual_access:  read_only
        .address_space:  global
        .offset:         24
        .size:           8
        .value_kind:     global_buffer
      - .offset:         32
        .size:           8
        .value_kind:     by_value
      - .actual_access:  read_only
        .address_space:  global
        .offset:         40
        .size:           8
        .value_kind:     global_buffer
      - .actual_access:  read_only
        .address_space:  global
        .offset:         48
        .size:           8
        .value_kind:     global_buffer
      - .offset:         56
        .size:           4
        .value_kind:     by_value
      - .actual_access:  read_only
        .address_space:  global
        .offset:         64
        .size:           8
        .value_kind:     global_buffer
      - .actual_access:  read_only
        .address_space:  global
        .offset:         72
        .size:           8
        .value_kind:     global_buffer
      - .address_space:  global
        .offset:         80
        .size:           8
        .value_kind:     global_buffer
    .group_segment_fixed_size: 0
    .kernarg_segment_align: 8
    .kernarg_segment_size: 88
    .language:       OpenCL C
    .language_version:
      - 2
      - 0
    .max_flat_workgroup_size: 256
    .name:           fft_rtc_fwd_len192_factors_2_2_3_4_4_wgs_256_tpt_16_dim2_sp_ip_CI_sbcc_twdbase8_2step_dirReg
    .private_segment_fixed_size: 0
    .sgpr_count:     24
    .sgpr_spill_count: 0
    .symbol:         fft_rtc_fwd_len192_factors_2_2_3_4_4_wgs_256_tpt_16_dim2_sp_ip_CI_sbcc_twdbase8_2step_dirReg.kd
    .uniform_work_group_size: 1
    .uses_dynamic_stack: false
    .vgpr_count:     83
    .vgpr_spill_count: 0
    .wavefront_size: 32
    .workgroup_processor_mode: 1
amdhsa.target:   amdgcn-amd-amdhsa--gfx1030
amdhsa.version:
  - 1
  - 2
...

	.end_amdgpu_metadata
